;; amdgpu-corpus repo=ggml-org/llama.cpp kind=compiled arch=gfx906 opt=O3
	.amdgcn_target "amdgcn-amd-amdhsa--gfx906"
	.amdhsa_code_object_version 6
	.section	.text._ZL10argmax_f32PKfPil,"axG",@progbits,_ZL10argmax_f32PKfPil,comdat
	.globl	_ZL10argmax_f32PKfPil           ; -- Begin function _ZL10argmax_f32PKfPil
	.p2align	8
	.type	_ZL10argmax_f32PKfPil,@function
_ZL10argmax_f32PKfPil:                  ; @_ZL10argmax_f32PKfPil
; %bb.0:
	s_load_dwordx2 s[0:1], s[4:5], 0x10
	v_mov_b32_e32 v1, 0
	s_add_u32 s10, s4, 24
	s_mov_b32 s7, 0
	s_addc_u32 s11, s5, 0
	s_waitcnt lgkmcnt(0)
	v_cmp_le_i64_e32 vcc, s[0:1], v[0:1]
                                        ; implicit-def: $sgpr12
	s_and_saveexec_b64 s[2:3], vcc
	s_xor_b64 s[2:3], exec, s[2:3]
; %bb.1:
	s_load_dword s12, s[10:11], 0xc
; %bb.2:
	s_or_saveexec_b64 s[8:9], s[2:3]
	s_load_dwordx2 s[2:3], s[4:5], 0x8
	v_mov_b32_e32 v5, -1
	v_mov_b32_e32 v6, 0xff7fffff
	s_waitcnt lgkmcnt(0)
	v_mov_b32_e32 v3, s12
	s_xor_b64 exec, exec, s[8:9]
	s_cbranch_execz .LBB0_6
; %bb.3:
	s_load_dwordx2 s[4:5], s[4:5], 0x0
	s_mul_i32 s12, s1, s6
	s_mul_hi_u32 s13, s0, s6
	s_load_dword s10, s[10:11], 0xc
	s_add_i32 s13, s13, s12
	s_mul_i32 s12, s0, s6
	s_lshl_b64 s[12:13], s[12:13], 2
	s_waitcnt lgkmcnt(0)
	s_add_u32 s11, s4, s12
	s_addc_u32 s13, s5, s13
	v_mov_b32_e32 v2, v1
	s_and_b32 s12, s10, 0xffff
	v_mov_b32_e32 v5, -1
	v_mov_b32_e32 v6, 0xff7fffff
	s_mov_b64 s[4:5], 0
	v_mov_b32_e32 v3, s13
	v_mov_b32_e32 v1, v0
	;; [unrolled: 1-line block ×3, first 2 shown]
.LBB0_4:                                ; =>This Inner Loop Header: Depth=1
	v_lshlrev_b64 v[1:2], 2, v[1:2]
	v_add_co_u32_e32 v1, vcc, s11, v1
	v_addc_co_u32_e32 v2, vcc, v3, v2, vcc
	global_load_dword v7, v[1:2], off
	v_add_u32_e32 v1, s12, v4
	v_ashrrev_i32_e32 v2, 31, v1
	v_cmp_le_i64_e32 vcc, s[0:1], v[1:2]
	s_or_b64 s[4:5], vcc, s[4:5]
	s_waitcnt vmcnt(0)
	v_cmp_gt_f32_e32 vcc, v7, v6
	v_cndmask_b32_e32 v5, v5, v4, vcc
	v_mov_b32_e32 v4, v1
	v_cndmask_b32_e32 v6, v6, v7, vcc
	s_andn2_b64 exec, exec, s[4:5]
	s_cbranch_execnz .LBB0_4
; %bb.5:
	s_or_b64 exec, exec, s[4:5]
	v_mov_b32_e32 v3, s10
.LBB0_6:
	s_or_b64 exec, exec, s[8:9]
	v_mbcnt_lo_u32_b32 v1, -1, 0
	v_mbcnt_hi_u32_b32 v1, -1, v1
	v_and_b32_e32 v2, 0x60, v1
	v_add_u32_e32 v8, 32, v2
	v_xor_b32_e32 v2, 16, v1
	v_cmp_lt_i32_e32 vcc, v2, v8
	v_cndmask_b32_e32 v2, v1, v2, vcc
	v_lshlrev_b32_e32 v4, 2, v2
	ds_bpermute_b32 v2, v4, v6
	ds_bpermute_b32 v7, v4, v5
	v_cmp_lt_u16_e64 s[0:1], 63, v3
	s_waitcnt lgkmcnt(1)
	v_cmp_lt_f32_e32 vcc, v6, v2
	s_waitcnt lgkmcnt(0)
	v_cndmask_b32_e32 v7, v5, v7, vcc
	v_xor_b32_e32 v5, 8, v1
	v_cndmask_b32_e32 v2, v6, v2, vcc
	v_cmp_lt_i32_e32 vcc, v5, v8
	v_cndmask_b32_e32 v5, v1, v5, vcc
	v_lshlrev_b32_e32 v5, 2, v5
	ds_bpermute_b32 v6, v5, v2
	ds_bpermute_b32 v9, v5, v7
	s_waitcnt lgkmcnt(1)
	v_cmp_lt_f32_e32 vcc, v2, v6
	v_cndmask_b32_e32 v2, v2, v6, vcc
	v_xor_b32_e32 v6, 4, v1
	s_waitcnt lgkmcnt(0)
	v_cndmask_b32_e32 v7, v7, v9, vcc
	v_cmp_lt_i32_e32 vcc, v6, v8
	v_cndmask_b32_e32 v6, v1, v6, vcc
	v_lshlrev_b32_e32 v6, 2, v6
	ds_bpermute_b32 v9, v6, v2
	ds_bpermute_b32 v10, v6, v7
	s_waitcnt lgkmcnt(1)
	v_cmp_lt_f32_e32 vcc, v2, v9
	s_waitcnt lgkmcnt(0)
	v_cndmask_b32_e32 v10, v7, v10, vcc
	v_xor_b32_e32 v7, 2, v1
	v_cndmask_b32_e32 v2, v2, v9, vcc
	v_cmp_lt_i32_e32 vcc, v7, v8
	v_cndmask_b32_e32 v7, v1, v7, vcc
	v_lshlrev_b32_e32 v7, 2, v7
	ds_bpermute_b32 v9, v7, v2
	ds_bpermute_b32 v11, v7, v10
	s_waitcnt lgkmcnt(1)
	v_cmp_lt_f32_e32 vcc, v2, v9
	v_cndmask_b32_e32 v2, v2, v9, vcc
	v_xor_b32_e32 v9, 1, v1
	s_waitcnt lgkmcnt(0)
	v_cndmask_b32_e32 v10, v10, v11, vcc
	v_cmp_lt_i32_e32 vcc, v9, v8
	v_cndmask_b32_e32 v1, v1, v9, vcc
	v_lshlrev_b32_e32 v8, 2, v1
	ds_bpermute_b32 v9, v8, v2
	ds_bpermute_b32 v1, v8, v10
	s_waitcnt lgkmcnt(1)
	v_cmp_lt_f32_e32 vcc, v2, v9
	s_waitcnt lgkmcnt(0)
	v_cndmask_b32_e32 v1, v10, v1, vcc
	s_and_saveexec_b64 s[4:5], s[0:1]
	s_cbranch_execnz .LBB0_9
; %bb.7:
	s_or_b64 exec, exec, s[4:5]
	v_cmp_eq_u32_e32 vcc, 0, v0
	s_and_saveexec_b64 s[0:1], vcc
	s_cbranch_execnz .LBB0_16
.LBB0_8:
	s_endpgm
.LBB0_9:
	v_cndmask_b32_e32 v2, v2, v9, vcc
	v_and_b32_e32 v9, 31, v0
	v_cmp_eq_u32_e32 vcc, 0, v9
	s_and_saveexec_b64 s[0:1], vcc
; %bb.10:
	v_lshrrev_b32_e32 v10, 3, v0
	ds_write2_b32 v10, v1, v2 offset1:32
; %bb.11:
	s_or_b64 exec, exec, s[0:1]
	v_cmp_gt_u32_e32 vcc, 32, v0
	s_waitcnt lgkmcnt(0)
	s_barrier
	s_and_saveexec_b64 s[0:1], vcc
	s_cbranch_execz .LBB0_15
; %bb.12:
	v_lshrrev_b16_e32 v3, 5, v3
	v_cmp_lt_u32_e32 vcc, v9, v3
	s_and_saveexec_b64 s[8:9], vcc
; %bb.13:
	v_lshlrev_b32_e32 v1, 2, v9
	ds_read2_b32 v[1:2], v1 offset1:32
; %bb.14:
	s_or_b64 exec, exec, s[8:9]
	s_waitcnt lgkmcnt(0)
	ds_bpermute_b32 v3, v4, v2
	ds_bpermute_b32 v4, v4, v1
	s_waitcnt lgkmcnt(1)
	v_cmp_lt_f32_e32 vcc, v2, v3
	v_cndmask_b32_e32 v2, v2, v3, vcc
	ds_bpermute_b32 v3, v5, v2
	s_waitcnt lgkmcnt(1)
	v_cndmask_b32_e32 v1, v1, v4, vcc
	ds_bpermute_b32 v4, v5, v1
	s_waitcnt lgkmcnt(1)
	v_cmp_lt_f32_e32 vcc, v2, v3
	v_cndmask_b32_e32 v2, v2, v3, vcc
	ds_bpermute_b32 v3, v6, v2
	s_waitcnt lgkmcnt(1)
	v_cndmask_b32_e32 v1, v1, v4, vcc
	;; [unrolled: 7-line block ×3, first 2 shown]
	ds_bpermute_b32 v4, v7, v1
	s_waitcnt lgkmcnt(1)
	v_cmp_lt_f32_e32 vcc, v2, v3
	v_cndmask_b32_e32 v2, v2, v3, vcc
	s_waitcnt lgkmcnt(0)
	v_cndmask_b32_e32 v1, v1, v4, vcc
	ds_bpermute_b32 v3, v8, v2
	ds_bpermute_b32 v4, v8, v1
	s_waitcnt lgkmcnt(1)
	v_cmp_lt_f32_e32 vcc, v2, v3
	s_waitcnt lgkmcnt(0)
	v_cndmask_b32_e32 v1, v1, v4, vcc
.LBB0_15:
	s_or_b64 exec, exec, s[0:1]
	s_or_b64 exec, exec, s[4:5]
	v_cmp_eq_u32_e32 vcc, 0, v0
	s_and_saveexec_b64 s[0:1], vcc
	s_cbranch_execz .LBB0_8
.LBB0_16:
	s_lshl_b64 s[0:1], s[6:7], 2
	s_add_u32 s0, s2, s0
	s_addc_u32 s1, s3, s1
	v_mov_b32_e32 v0, 0
	global_store_dword v0, v1, s[0:1]
	s_endpgm
	.section	.rodata,"a",@progbits
	.p2align	6, 0x0
	.amdhsa_kernel _ZL10argmax_f32PKfPil
		.amdhsa_group_segment_fixed_size 256
		.amdhsa_private_segment_fixed_size 0
		.amdhsa_kernarg_size 280
		.amdhsa_user_sgpr_count 6
		.amdhsa_user_sgpr_private_segment_buffer 1
		.amdhsa_user_sgpr_dispatch_ptr 0
		.amdhsa_user_sgpr_queue_ptr 0
		.amdhsa_user_sgpr_kernarg_segment_ptr 1
		.amdhsa_user_sgpr_dispatch_id 0
		.amdhsa_user_sgpr_flat_scratch_init 0
		.amdhsa_user_sgpr_private_segment_size 0
		.amdhsa_uses_dynamic_stack 0
		.amdhsa_system_sgpr_private_segment_wavefront_offset 0
		.amdhsa_system_sgpr_workgroup_id_x 1
		.amdhsa_system_sgpr_workgroup_id_y 0
		.amdhsa_system_sgpr_workgroup_id_z 0
		.amdhsa_system_sgpr_workgroup_info 0
		.amdhsa_system_vgpr_workitem_id 0
		.amdhsa_next_free_vgpr 12
		.amdhsa_next_free_sgpr 14
		.amdhsa_reserve_vcc 1
		.amdhsa_reserve_flat_scratch 0
		.amdhsa_float_round_mode_32 0
		.amdhsa_float_round_mode_16_64 0
		.amdhsa_float_denorm_mode_32 3
		.amdhsa_float_denorm_mode_16_64 3
		.amdhsa_dx10_clamp 1
		.amdhsa_ieee_mode 1
		.amdhsa_fp16_overflow 0
		.amdhsa_exception_fp_ieee_invalid_op 0
		.amdhsa_exception_fp_denorm_src 0
		.amdhsa_exception_fp_ieee_div_zero 0
		.amdhsa_exception_fp_ieee_overflow 0
		.amdhsa_exception_fp_ieee_underflow 0
		.amdhsa_exception_fp_ieee_inexact 0
		.amdhsa_exception_int_div_zero 0
	.end_amdhsa_kernel
	.section	.text._ZL10argmax_f32PKfPil,"axG",@progbits,_ZL10argmax_f32PKfPil,comdat
.Lfunc_end0:
	.size	_ZL10argmax_f32PKfPil, .Lfunc_end0-_ZL10argmax_f32PKfPil
                                        ; -- End function
	.set _ZL10argmax_f32PKfPil.num_vgpr, 12
	.set _ZL10argmax_f32PKfPil.num_agpr, 0
	.set _ZL10argmax_f32PKfPil.numbered_sgpr, 14
	.set _ZL10argmax_f32PKfPil.num_named_barrier, 0
	.set _ZL10argmax_f32PKfPil.private_seg_size, 0
	.set _ZL10argmax_f32PKfPil.uses_vcc, 1
	.set _ZL10argmax_f32PKfPil.uses_flat_scratch, 0
	.set _ZL10argmax_f32PKfPil.has_dyn_sized_stack, 0
	.set _ZL10argmax_f32PKfPil.has_recursion, 0
	.set _ZL10argmax_f32PKfPil.has_indirect_call, 0
	.section	.AMDGPU.csdata,"",@progbits
; Kernel info:
; codeLenInByte = 884
; TotalNumSgprs: 18
; NumVgprs: 12
; ScratchSize: 0
; MemoryBound: 0
; FloatMode: 240
; IeeeMode: 1
; LDSByteSize: 256 bytes/workgroup (compile time only)
; SGPRBlocks: 2
; VGPRBlocks: 2
; NumSGPRsForWavesPerEU: 18
; NumVGPRsForWavesPerEU: 12
; Occupancy: 10
; WaveLimiterHint : 0
; COMPUTE_PGM_RSRC2:SCRATCH_EN: 0
; COMPUTE_PGM_RSRC2:USER_SGPR: 6
; COMPUTE_PGM_RSRC2:TRAP_HANDLER: 0
; COMPUTE_PGM_RSRC2:TGID_X_EN: 1
; COMPUTE_PGM_RSRC2:TGID_Y_EN: 0
; COMPUTE_PGM_RSRC2:TGID_Z_EN: 0
; COMPUTE_PGM_RSRC2:TIDIG_COMP_CNT: 0
	.section	.AMDGPU.gpr_maximums,"",@progbits
	.set amdgpu.max_num_vgpr, 0
	.set amdgpu.max_num_agpr, 0
	.set amdgpu.max_num_sgpr, 0
	.section	.AMDGPU.csdata,"",@progbits
	.type	__hip_cuid_2481cfcf176672a1,@object ; @__hip_cuid_2481cfcf176672a1
	.section	.bss,"aw",@nobits
	.globl	__hip_cuid_2481cfcf176672a1
__hip_cuid_2481cfcf176672a1:
	.byte	0                               ; 0x0
	.size	__hip_cuid_2481cfcf176672a1, 1

	.ident	"AMD clang version 22.0.0git (https://github.com/RadeonOpenCompute/llvm-project roc-7.2.4 26084 f58b06dce1f9c15707c5f808fd002e18c2accf7e)"
	.section	".note.GNU-stack","",@progbits
	.addrsig
	.addrsig_sym __hip_cuid_2481cfcf176672a1
	.amdgpu_metadata
---
amdhsa.kernels:
  - .args:
      - .actual_access:  read_only
        .address_space:  global
        .offset:         0
        .size:           8
        .value_kind:     global_buffer
      - .actual_access:  write_only
        .address_space:  global
        .offset:         8
        .size:           8
        .value_kind:     global_buffer
      - .offset:         16
        .size:           8
        .value_kind:     by_value
      - .offset:         24
        .size:           4
        .value_kind:     hidden_block_count_x
      - .offset:         28
        .size:           4
        .value_kind:     hidden_block_count_y
      - .offset:         32
        .size:           4
        .value_kind:     hidden_block_count_z
      - .offset:         36
        .size:           2
        .value_kind:     hidden_group_size_x
      - .offset:         38
        .size:           2
        .value_kind:     hidden_group_size_y
      - .offset:         40
        .size:           2
        .value_kind:     hidden_group_size_z
      - .offset:         42
        .size:           2
        .value_kind:     hidden_remainder_x
      - .offset:         44
        .size:           2
        .value_kind:     hidden_remainder_y
      - .offset:         46
        .size:           2
        .value_kind:     hidden_remainder_z
      - .offset:         64
        .size:           8
        .value_kind:     hidden_global_offset_x
      - .offset:         72
        .size:           8
        .value_kind:     hidden_global_offset_y
      - .offset:         80
        .size:           8
        .value_kind:     hidden_global_offset_z
      - .offset:         88
        .size:           2
        .value_kind:     hidden_grid_dims
    .group_segment_fixed_size: 256
    .kernarg_segment_align: 8
    .kernarg_segment_size: 280
    .language:       OpenCL C
    .language_version:
      - 2
      - 0
    .max_flat_workgroup_size: 1024
    .name:           _ZL10argmax_f32PKfPil
    .private_segment_fixed_size: 0
    .sgpr_count:     18
    .sgpr_spill_count: 0
    .symbol:         _ZL10argmax_f32PKfPil.kd
    .uniform_work_group_size: 1
    .uses_dynamic_stack: false
    .vgpr_count:     12
    .vgpr_spill_count: 0
    .wavefront_size: 64
amdhsa.target:   amdgcn-amd-amdhsa--gfx906
amdhsa.version:
  - 1
  - 2
...

	.end_amdgpu_metadata
